;; amdgpu-corpus repo=ROCm/rocFFT kind=compiled arch=gfx1030 opt=O3
	.text
	.amdgcn_target "amdgcn-amd-amdhsa--gfx1030"
	.amdhsa_code_object_version 6
	.protected	fft_rtc_back_len672_factors_2_2_2_2_2_3_7_wgs_56_tpt_56_halfLds_half_op_CI_CI_unitstride_sbrr_R2C_dirReg ; -- Begin function fft_rtc_back_len672_factors_2_2_2_2_2_3_7_wgs_56_tpt_56_halfLds_half_op_CI_CI_unitstride_sbrr_R2C_dirReg
	.globl	fft_rtc_back_len672_factors_2_2_2_2_2_3_7_wgs_56_tpt_56_halfLds_half_op_CI_CI_unitstride_sbrr_R2C_dirReg
	.p2align	8
	.type	fft_rtc_back_len672_factors_2_2_2_2_2_3_7_wgs_56_tpt_56_halfLds_half_op_CI_CI_unitstride_sbrr_R2C_dirReg,@function
fft_rtc_back_len672_factors_2_2_2_2_2_3_7_wgs_56_tpt_56_halfLds_half_op_CI_CI_unitstride_sbrr_R2C_dirReg: ; @fft_rtc_back_len672_factors_2_2_2_2_2_3_7_wgs_56_tpt_56_halfLds_half_op_CI_CI_unitstride_sbrr_R2C_dirReg
; %bb.0:
	s_clause 0x2
	s_load_dwordx4 s[12:15], s[4:5], 0x0
	s_load_dwordx4 s[8:11], s[4:5], 0x58
	;; [unrolled: 1-line block ×3, first 2 shown]
	v_mul_u32_u24_e32 v1, 0x493, v0
	v_mov_b32_e32 v3, 0
	v_mov_b32_e32 v13, 0
	;; [unrolled: 1-line block ×3, first 2 shown]
	v_add_nc_u32_sdwa v7, s6, v1 dst_sel:DWORD dst_unused:UNUSED_PAD src0_sel:DWORD src1_sel:WORD_1
	v_mov_b32_e32 v8, v3
	s_waitcnt lgkmcnt(0)
	v_cmp_lt_u64_e64 s0, s[14:15], 2
	s_and_b32 vcc_lo, exec_lo, s0
	s_cbranch_vccnz .LBB0_8
; %bb.1:
	s_load_dwordx2 s[0:1], s[4:5], 0x10
	v_mov_b32_e32 v13, 0
	v_mov_b32_e32 v14, 0
	s_add_u32 s2, s18, 8
	s_addc_u32 s3, s19, 0
	v_mov_b32_e32 v1, v13
	s_add_u32 s6, s16, 8
	v_mov_b32_e32 v2, v14
	s_addc_u32 s7, s17, 0
	s_mov_b64 s[22:23], 1
	s_waitcnt lgkmcnt(0)
	s_add_u32 s20, s0, 8
	s_addc_u32 s21, s1, 0
.LBB0_2:                                ; =>This Inner Loop Header: Depth=1
	s_load_dwordx2 s[24:25], s[20:21], 0x0
                                        ; implicit-def: $vgpr5_vgpr6
	s_mov_b32 s0, exec_lo
	s_waitcnt lgkmcnt(0)
	v_or_b32_e32 v4, s25, v8
	v_cmpx_ne_u64_e32 0, v[3:4]
	s_xor_b32 s1, exec_lo, s0
	s_cbranch_execz .LBB0_4
; %bb.3:                                ;   in Loop: Header=BB0_2 Depth=1
	v_cvt_f32_u32_e32 v4, s24
	v_cvt_f32_u32_e32 v5, s25
	s_sub_u32 s0, 0, s24
	s_subb_u32 s26, 0, s25
	v_fmac_f32_e32 v4, 0x4f800000, v5
	v_rcp_f32_e32 v4, v4
	v_mul_f32_e32 v4, 0x5f7ffffc, v4
	v_mul_f32_e32 v5, 0x2f800000, v4
	v_trunc_f32_e32 v5, v5
	v_fmac_f32_e32 v4, 0xcf800000, v5
	v_cvt_u32_f32_e32 v5, v5
	v_cvt_u32_f32_e32 v4, v4
	v_mul_lo_u32 v6, s0, v5
	v_mul_hi_u32 v9, s0, v4
	v_mul_lo_u32 v10, s26, v4
	v_add_nc_u32_e32 v6, v9, v6
	v_mul_lo_u32 v9, s0, v4
	v_add_nc_u32_e32 v6, v6, v10
	v_mul_hi_u32 v10, v4, v9
	v_mul_lo_u32 v11, v4, v6
	v_mul_hi_u32 v12, v4, v6
	v_mul_hi_u32 v15, v5, v9
	v_mul_lo_u32 v9, v5, v9
	v_mul_hi_u32 v16, v5, v6
	v_mul_lo_u32 v6, v5, v6
	v_add_co_u32 v10, vcc_lo, v10, v11
	v_add_co_ci_u32_e32 v11, vcc_lo, 0, v12, vcc_lo
	v_add_co_u32 v9, vcc_lo, v10, v9
	v_add_co_ci_u32_e32 v9, vcc_lo, v11, v15, vcc_lo
	v_add_co_ci_u32_e32 v10, vcc_lo, 0, v16, vcc_lo
	v_add_co_u32 v6, vcc_lo, v9, v6
	v_add_co_ci_u32_e32 v9, vcc_lo, 0, v10, vcc_lo
	v_add_co_u32 v4, vcc_lo, v4, v6
	v_add_co_ci_u32_e32 v5, vcc_lo, v5, v9, vcc_lo
	v_mul_hi_u32 v6, s0, v4
	v_mul_lo_u32 v10, s26, v4
	v_mul_lo_u32 v9, s0, v5
	v_add_nc_u32_e32 v6, v6, v9
	v_mul_lo_u32 v9, s0, v4
	v_add_nc_u32_e32 v6, v6, v10
	v_mul_hi_u32 v10, v4, v9
	v_mul_lo_u32 v11, v4, v6
	v_mul_hi_u32 v12, v4, v6
	v_mul_hi_u32 v15, v5, v9
	v_mul_lo_u32 v9, v5, v9
	v_mul_hi_u32 v16, v5, v6
	v_mul_lo_u32 v6, v5, v6
	v_add_co_u32 v10, vcc_lo, v10, v11
	v_add_co_ci_u32_e32 v11, vcc_lo, 0, v12, vcc_lo
	v_add_co_u32 v9, vcc_lo, v10, v9
	v_add_co_ci_u32_e32 v9, vcc_lo, v11, v15, vcc_lo
	v_add_co_ci_u32_e32 v10, vcc_lo, 0, v16, vcc_lo
	v_add_co_u32 v6, vcc_lo, v9, v6
	v_add_co_ci_u32_e32 v9, vcc_lo, 0, v10, vcc_lo
	v_add_co_u32 v6, vcc_lo, v4, v6
	v_add_co_ci_u32_e32 v11, vcc_lo, v5, v9, vcc_lo
	v_mul_hi_u32 v15, v7, v6
	v_mad_u64_u32 v[9:10], null, v8, v6, 0
	v_mad_u64_u32 v[4:5], null, v7, v11, 0
	;; [unrolled: 1-line block ×3, first 2 shown]
	v_add_co_u32 v4, vcc_lo, v15, v4
	v_add_co_ci_u32_e32 v5, vcc_lo, 0, v5, vcc_lo
	v_add_co_u32 v4, vcc_lo, v4, v9
	v_add_co_ci_u32_e32 v4, vcc_lo, v5, v10, vcc_lo
	v_add_co_ci_u32_e32 v5, vcc_lo, 0, v12, vcc_lo
	v_add_co_u32 v9, vcc_lo, v4, v11
	v_add_co_ci_u32_e32 v6, vcc_lo, 0, v5, vcc_lo
	v_mul_lo_u32 v10, s25, v9
	v_mad_u64_u32 v[4:5], null, s24, v9, 0
	v_mul_lo_u32 v11, s24, v6
	v_sub_co_u32 v4, vcc_lo, v7, v4
	v_add3_u32 v5, v5, v11, v10
	v_sub_nc_u32_e32 v10, v8, v5
	v_subrev_co_ci_u32_e64 v10, s0, s25, v10, vcc_lo
	v_add_co_u32 v11, s0, v9, 2
	v_add_co_ci_u32_e64 v12, s0, 0, v6, s0
	v_sub_co_u32 v15, s0, v4, s24
	v_sub_co_ci_u32_e32 v5, vcc_lo, v8, v5, vcc_lo
	v_subrev_co_ci_u32_e64 v10, s0, 0, v10, s0
	v_cmp_le_u32_e32 vcc_lo, s24, v15
	v_cmp_eq_u32_e64 s0, s25, v5
	v_cndmask_b32_e64 v15, 0, -1, vcc_lo
	v_cmp_le_u32_e32 vcc_lo, s25, v10
	v_cndmask_b32_e64 v16, 0, -1, vcc_lo
	v_cmp_le_u32_e32 vcc_lo, s24, v4
	;; [unrolled: 2-line block ×3, first 2 shown]
	v_cndmask_b32_e64 v17, 0, -1, vcc_lo
	v_cmp_eq_u32_e32 vcc_lo, s25, v10
	v_cndmask_b32_e64 v4, v17, v4, s0
	v_cndmask_b32_e32 v10, v16, v15, vcc_lo
	v_add_co_u32 v15, vcc_lo, v9, 1
	v_add_co_ci_u32_e32 v16, vcc_lo, 0, v6, vcc_lo
	v_cmp_ne_u32_e32 vcc_lo, 0, v10
	v_cndmask_b32_e32 v5, v16, v12, vcc_lo
	v_cndmask_b32_e32 v10, v15, v11, vcc_lo
	v_cmp_ne_u32_e32 vcc_lo, 0, v4
	v_cndmask_b32_e32 v6, v6, v5, vcc_lo
	v_cndmask_b32_e32 v5, v9, v10, vcc_lo
.LBB0_4:                                ;   in Loop: Header=BB0_2 Depth=1
	s_andn2_saveexec_b32 s0, s1
	s_cbranch_execz .LBB0_6
; %bb.5:                                ;   in Loop: Header=BB0_2 Depth=1
	v_cvt_f32_u32_e32 v4, s24
	s_sub_i32 s1, 0, s24
	v_rcp_iflag_f32_e32 v4, v4
	v_mul_f32_e32 v4, 0x4f7ffffe, v4
	v_cvt_u32_f32_e32 v4, v4
	v_mul_lo_u32 v5, s1, v4
	v_mul_hi_u32 v5, v4, v5
	v_add_nc_u32_e32 v4, v4, v5
	v_mul_hi_u32 v4, v7, v4
	v_mul_lo_u32 v5, v4, s24
	v_add_nc_u32_e32 v6, 1, v4
	v_sub_nc_u32_e32 v5, v7, v5
	v_subrev_nc_u32_e32 v9, s24, v5
	v_cmp_le_u32_e32 vcc_lo, s24, v5
	v_cndmask_b32_e32 v5, v5, v9, vcc_lo
	v_cndmask_b32_e32 v4, v4, v6, vcc_lo
	v_cmp_le_u32_e32 vcc_lo, s24, v5
	v_add_nc_u32_e32 v6, 1, v4
	v_cndmask_b32_e32 v5, v4, v6, vcc_lo
	v_mov_b32_e32 v6, v3
.LBB0_6:                                ;   in Loop: Header=BB0_2 Depth=1
	s_or_b32 exec_lo, exec_lo, s0
	v_mul_lo_u32 v4, v6, s24
	v_mul_lo_u32 v11, v5, s25
	s_load_dwordx2 s[0:1], s[6:7], 0x0
	v_mad_u64_u32 v[9:10], null, v5, s24, 0
	s_load_dwordx2 s[24:25], s[2:3], 0x0
	s_add_u32 s22, s22, 1
	s_addc_u32 s23, s23, 0
	s_add_u32 s2, s2, 8
	s_addc_u32 s3, s3, 0
	s_add_u32 s6, s6, 8
	v_add3_u32 v4, v10, v11, v4
	v_sub_co_u32 v7, vcc_lo, v7, v9
	s_addc_u32 s7, s7, 0
	s_add_u32 s20, s20, 8
	v_sub_co_ci_u32_e32 v4, vcc_lo, v8, v4, vcc_lo
	s_addc_u32 s21, s21, 0
	s_waitcnt lgkmcnt(0)
	v_mul_lo_u32 v8, s0, v4
	v_mul_lo_u32 v9, s1, v7
	v_mad_u64_u32 v[13:14], null, s0, v7, v[13:14]
	v_mul_lo_u32 v4, s24, v4
	v_mul_lo_u32 v10, s25, v7
	v_mad_u64_u32 v[1:2], null, s24, v7, v[1:2]
	v_cmp_ge_u64_e64 s0, s[22:23], s[14:15]
	v_add3_u32 v14, v9, v14, v8
	v_add3_u32 v2, v10, v2, v4
	s_and_b32 vcc_lo, exec_lo, s0
	s_cbranch_vccnz .LBB0_9
; %bb.7:                                ;   in Loop: Header=BB0_2 Depth=1
	v_mov_b32_e32 v8, v6
	v_mov_b32_e32 v7, v5
	s_branch .LBB0_2
.LBB0_8:
	v_mov_b32_e32 v1, v13
	v_mov_b32_e32 v5, v7
	;; [unrolled: 1-line block ×4, first 2 shown]
.LBB0_9:
	s_load_dwordx2 s[0:1], s[4:5], 0x28
	v_mul_hi_u32 v4, 0x4924925, v0
	s_lshl_b64 s[4:5], s[14:15], 3
                                        ; implicit-def: $vgpr3
                                        ; implicit-def: $vgpr7
                                        ; implicit-def: $vgpr12
                                        ; implicit-def: $vgpr11
                                        ; implicit-def: $vgpr10
                                        ; implicit-def: $vgpr9
	s_add_u32 s2, s18, s4
	s_addc_u32 s3, s19, s5
	s_waitcnt lgkmcnt(0)
	v_cmp_gt_u64_e32 vcc_lo, s[0:1], v[5:6]
	v_cmp_le_u64_e64 s0, s[0:1], v[5:6]
	s_and_saveexec_b32 s1, s0
	s_xor_b32 s0, exec_lo, s1
; %bb.10:
	v_mul_u32_u24_e32 v3, 56, v4
                                        ; implicit-def: $vgpr4
                                        ; implicit-def: $vgpr13_vgpr14
	v_sub_nc_u32_e32 v3, v0, v3
                                        ; implicit-def: $vgpr0
	v_add_nc_u32_e32 v7, 56, v3
	v_add_nc_u32_e32 v12, 0x70, v3
	;; [unrolled: 1-line block ×5, first 2 shown]
; %bb.11:
	s_andn2_saveexec_b32 s1, s0
	s_cbranch_execz .LBB0_13
; %bb.12:
	s_add_u32 s4, s16, s4
	s_addc_u32 s5, s17, s5
	s_load_dwordx2 s[4:5], s[4:5], 0x0
	s_waitcnt lgkmcnt(0)
	v_mul_lo_u32 v3, s5, v5
	v_mul_lo_u32 v9, s4, v6
	v_mad_u64_u32 v[7:8], null, s4, v5, 0
	v_add3_u32 v8, v8, v9, v3
	v_mul_u32_u24_e32 v3, 56, v4
	v_lshlrev_b64 v[9:10], 2, v[13:14]
	v_lshlrev_b64 v[7:8], 2, v[7:8]
	v_sub_nc_u32_e32 v3, v0, v3
	v_lshlrev_b32_e32 v11, 2, v3
	v_add_co_u32 v0, s0, s8, v7
	v_add_co_ci_u32_e64 v4, s0, s9, v8, s0
	v_add_nc_u32_e32 v12, 0x70, v3
	v_add_co_u32 v0, s0, v0, v9
	v_add_co_ci_u32_e64 v4, s0, v4, v10, s0
	v_add_co_u32 v7, s0, v0, v11
	v_add_co_ci_u32_e64 v8, s0, 0, v4, s0
	;; [unrolled: 2-line block ×3, first 2 shown]
	s_clause 0xb
	global_load_dword v0, v[7:8], off
	global_load_dword v4, v[7:8], off offset:224
	global_load_dword v13, v[7:8], off offset:448
	;; [unrolled: 1-line block ×11, first 2 shown]
	v_add_nc_u32_e32 v9, 0, v11
	v_add_nc_u32_e32 v7, 56, v3
	v_add_nc_u32_e32 v11, 0xa8, v3
	v_add_nc_u32_e32 v10, 0xe0, v3
	s_waitcnt vmcnt(10)
	ds_write2_b32 v9, v0, v4 offset1:56
	s_waitcnt vmcnt(8)
	ds_write2_b32 v9, v13, v14 offset0:112 offset1:168
	v_add_nc_u32_e32 v22, 0x200, v9
	v_add_nc_u32_e32 v23, 0x400, v9
	;; [unrolled: 1-line block ×4, first 2 shown]
	s_waitcnt vmcnt(6)
	ds_write2_b32 v22, v15, v16 offset0:96 offset1:152
	s_waitcnt vmcnt(4)
	ds_write2_b32 v23, v17, v18 offset0:80 offset1:136
	;; [unrolled: 2-line block ×4, first 2 shown]
.LBB0_13:
	s_or_b32 exec_lo, exec_lo, s1
	v_lshlrev_b32_e32 v4, 2, v3
	s_load_dwordx2 s[2:3], s[2:3], 0x0
	s_waitcnt lgkmcnt(0)
	s_barrier
	buffer_gl0_inv
	v_add_nc_u32_e32 v25, 0, v4
	v_and_b32_e32 v38, 1, v3
	v_lshl_add_u32 v18, v7, 3, 0
	v_lshl_add_u32 v28, v12, 3, 0
	;; [unrolled: 1-line block ×3, first 2 shown]
	v_add_nc_u32_e32 v32, 0x200, v25
	v_add_nc_u32_e32 v17, 0x800, v25
	;; [unrolled: 1-line block ×3, first 2 shown]
	v_lshlrev_b32_e32 v8, 2, v38
	v_add_nc_u32_e32 v31, v25, v4
	ds_read2_b32 v[13:14], v32 offset0:96 offset1:152
	ds_read2_b32 v[15:16], v17 offset0:48 offset1:104
	ds_read2_b32 v[19:20], v25 offset1:56
	ds_read2_b32 v[21:22], v33 offset0:80 offset1:136
	ds_read2_b32 v[23:24], v25 offset0:112 offset1:168
	;; [unrolled: 1-line block ×3, first 2 shown]
	v_lshl_add_u32 v26, v10, 3, 0
	v_lshl_add_u32 v0, v9, 3, 0
	s_waitcnt lgkmcnt(0)
	s_barrier
	buffer_gl0_inv
	v_lshlrev_b32_e32 v34, 2, v7
	v_and_b32_e32 v43, 3, v3
	v_cmp_gt_u32_e64 s0, 40, v3
	v_lshlrev_b32_e32 v50, 2, v43
	v_pk_add_f16 v15, v13, v15 neg_lo:[0,1] neg_hi:[0,1]
	v_pk_add_f16 v16, v14, v16 neg_lo:[0,1] neg_hi:[0,1]
	;; [unrolled: 1-line block ×6, first 2 shown]
	v_pk_fma_f16 v13, v13, 2.0, v15 op_sel_hi:[1,0,1] neg_lo:[0,0,1] neg_hi:[0,0,1]
	v_pk_fma_f16 v19, v19, 2.0, v21 op_sel_hi:[1,0,1] neg_lo:[0,0,1] neg_hi:[0,0,1]
	;; [unrolled: 1-line block ×6, first 2 shown]
	ds_write2_b32 v31, v19, v21 offset1:1
	ds_write2_b32 v18, v20, v22 offset1:1
	ds_write2_b32 v28, v23, v29 offset1:1
	ds_write2_b32 v27, v24, v30 offset1:1
	ds_write2_b32 v26, v13, v15 offset1:1
	ds_write2_b32 v0, v14, v16 offset1:1
	s_waitcnt lgkmcnt(0)
	s_barrier
	buffer_gl0_inv
	global_load_dword v42, v8, s[12:13]
	v_lshlrev_b32_e32 v19, 1, v3
	v_lshlrev_b32_e32 v20, 1, v7
	;; [unrolled: 1-line block ×6, first 2 shown]
	ds_read2_b32 v[40:41], v33 offset0:80 offset1:136
	v_and_or_b32 v44, 0x7c, v19, v38
	v_and_or_b32 v45, 0xfc, v20, v38
	;; [unrolled: 1-line block ×5, first 2 shown]
	ds_read2_b32 v[36:37], v17 offset0:48 offset1:104
	v_and_or_b32 v49, 0x2fc, v24, v38
	ds_read2_b32 v[38:39], v33 offset0:192 offset1:248
	v_lshlrev_b32_e32 v8, 2, v12
	v_lshlrev_b32_e32 v29, 2, v11
	;; [unrolled: 1-line block ×4, first 2 shown]
	v_sub_nc_u32_e32 v13, v18, v34
	v_sub_nc_u32_e32 v15, v28, v8
	;; [unrolled: 1-line block ×5, first 2 shown]
	ds_read_b32 v51, v25
	ds_read_b32 v52, v13
	ds_read_b32 v53, v15
	ds_read_b32 v54, v14
	ds_read_b32 v55, v16
	ds_read_b32 v56, v35
	v_lshl_add_u32 v44, v44, 2, 0
	v_lshl_add_u32 v45, v45, 2, 0
	;; [unrolled: 1-line block ×6, first 2 shown]
	s_waitcnt vmcnt(0) lgkmcnt(0)
	s_barrier
	buffer_gl0_inv
	v_sub_nc_u32_e32 v34, 0, v34
	v_add_nc_u32_e32 v34, v18, v34
                                        ; implicit-def: $vgpr18
	v_pk_mul_f16 v62, v42, v40 op_sel:[0,1]
	v_pk_mul_f16 v57, v42, v37 op_sel:[0,1]
	;; [unrolled: 1-line block ×6, first 2 shown]
	v_pk_fma_f16 v64, v42, v40, v62 op_sel:[0,0,1] op_sel_hi:[1,1,0]
	v_pk_fma_f16 v40, v42, v40, v62 op_sel:[0,0,1] op_sel_hi:[1,0,0] neg_lo:[1,0,0] neg_hi:[1,0,0]
	v_pk_fma_f16 v63, v42, v37, v57 op_sel:[0,0,1] op_sel_hi:[1,1,0]
	v_pk_fma_f16 v37, v42, v37, v57 op_sel:[0,0,1] op_sel_hi:[1,0,0] neg_lo:[1,0,0] neg_hi:[1,0,0]
	;; [unrolled: 2-line block ×6, first 2 shown]
	v_bfi_b32 v40, 0xffff, v64, v40
	v_bfi_b32 v39, 0xffff, v58, v39
	;; [unrolled: 1-line block ×6, first 2 shown]
	v_pk_add_f16 v40, v51, v40 neg_lo:[0,1] neg_hi:[0,1]
	v_pk_add_f16 v38, v53, v38 neg_lo:[0,1] neg_hi:[0,1]
	;; [unrolled: 1-line block ×6, first 2 shown]
	v_pk_fma_f16 v51, v51, 2.0, v40 op_sel_hi:[1,0,1] neg_lo:[0,0,1] neg_hi:[0,0,1]
	v_pk_fma_f16 v53, v53, 2.0, v38 op_sel_hi:[1,0,1] neg_lo:[0,0,1] neg_hi:[0,0,1]
	v_pk_fma_f16 v52, v52, 2.0, v41 op_sel_hi:[1,0,1] neg_lo:[0,0,1] neg_hi:[0,0,1]
	v_pk_fma_f16 v54, v54, 2.0, v39 op_sel_hi:[1,0,1] neg_lo:[0,0,1] neg_hi:[0,0,1]
	v_pk_fma_f16 v42, v56, 2.0, v37 op_sel_hi:[1,0,1] neg_lo:[0,0,1] neg_hi:[0,0,1]
	v_pk_fma_f16 v55, v55, 2.0, v36 op_sel_hi:[1,0,1] neg_lo:[0,0,1] neg_hi:[0,0,1]
	ds_write2_b32 v44, v51, v40 offset1:2
	ds_write2_b32 v45, v52, v41 offset1:2
	ds_write2_b32 v46, v53, v38 offset1:2
	ds_write2_b32 v47, v54, v39 offset1:2
	ds_write2_b32 v48, v55, v36 offset1:2
	ds_write2_b32 v49, v42, v37 offset1:2
	s_waitcnt lgkmcnt(0)
	s_barrier
	buffer_gl0_inv
	global_load_dword v42, v50, s[12:13] offset:8
	ds_read2_b32 v[40:41], v33 offset0:80 offset1:136
	ds_read2_b32 v[36:37], v17 offset0:48 offset1:104
	;; [unrolled: 1-line block ×3, first 2 shown]
	ds_read_b32 v51, v25
	ds_read_b32 v52, v13
	ds_read_b32 v53, v15
	ds_read_b32 v54, v14
	ds_read_b32 v55, v16
	ds_read_b32 v56, v35
	v_and_b32_e32 v44, 7, v3
	v_and_or_b32 v45, 0x78, v19, v43
	v_and_or_b32 v46, 0xf8, v20, v43
	;; [unrolled: 1-line block ×6, first 2 shown]
	v_lshlrev_b32_e32 v50, 2, v44
	v_lshl_add_u32 v45, v45, 2, 0
	v_lshl_add_u32 v46, v46, 2, 0
	;; [unrolled: 1-line block ×6, first 2 shown]
	s_waitcnt vmcnt(0) lgkmcnt(0)
	s_barrier
	buffer_gl0_inv
	v_pk_mul_f16 v62, v42, v40 op_sel:[0,1]
	v_pk_mul_f16 v57, v42, v37 op_sel:[0,1]
	;; [unrolled: 1-line block ×6, first 2 shown]
	v_pk_fma_f16 v64, v42, v40, v62 op_sel:[0,0,1] op_sel_hi:[1,1,0]
	v_pk_fma_f16 v40, v42, v40, v62 op_sel:[0,0,1] op_sel_hi:[1,0,0] neg_lo:[1,0,0] neg_hi:[1,0,0]
	v_pk_fma_f16 v63, v42, v37, v57 op_sel:[0,0,1] op_sel_hi:[1,1,0]
	v_pk_fma_f16 v37, v42, v37, v57 op_sel:[0,0,1] op_sel_hi:[1,0,0] neg_lo:[1,0,0] neg_hi:[1,0,0]
	v_pk_fma_f16 v57, v42, v36, v58 op_sel:[0,0,1] op_sel_hi:[1,1,0]
	v_pk_fma_f16 v36, v42, v36, v58 op_sel:[0,0,1] op_sel_hi:[1,0,0] neg_lo:[1,0,0] neg_hi:[1,0,0]
	v_pk_fma_f16 v58, v42, v39, v59 op_sel:[0,0,1] op_sel_hi:[1,1,0]
	v_pk_fma_f16 v39, v42, v39, v59 op_sel:[0,0,1] op_sel_hi:[1,0,0] neg_lo:[1,0,0] neg_hi:[1,0,0]
	v_pk_fma_f16 v59, v42, v38, v60 op_sel:[0,0,1] op_sel_hi:[1,1,0]
	v_pk_fma_f16 v38, v42, v38, v60 op_sel:[0,0,1] op_sel_hi:[1,0,0] neg_lo:[1,0,0] neg_hi:[1,0,0]
	v_pk_fma_f16 v60, v42, v41, v61 op_sel:[0,0,1] op_sel_hi:[1,1,0]
	v_pk_fma_f16 v41, v42, v41, v61 op_sel:[0,0,1] op_sel_hi:[1,0,0] neg_lo:[1,0,0] neg_hi:[1,0,0]
	v_bfi_b32 v40, 0xffff, v64, v40
	v_bfi_b32 v39, 0xffff, v58, v39
	;; [unrolled: 1-line block ×6, first 2 shown]
	v_pk_add_f16 v40, v51, v40 neg_lo:[0,1] neg_hi:[0,1]
	v_pk_add_f16 v38, v53, v38 neg_lo:[0,1] neg_hi:[0,1]
	;; [unrolled: 1-line block ×6, first 2 shown]
	v_pk_fma_f16 v51, v51, 2.0, v40 op_sel_hi:[1,0,1] neg_lo:[0,0,1] neg_hi:[0,0,1]
	v_pk_fma_f16 v53, v53, 2.0, v38 op_sel_hi:[1,0,1] neg_lo:[0,0,1] neg_hi:[0,0,1]
	;; [unrolled: 1-line block ×6, first 2 shown]
	ds_write2_b32 v45, v51, v40 offset1:4
	ds_write2_b32 v46, v52, v41 offset1:4
	ds_write2_b32 v47, v53, v38 offset1:4
	ds_write2_b32 v48, v54, v39 offset1:4
	ds_write2_b32 v49, v55, v36 offset1:4
	ds_write2_b32 v43, v42, v37 offset1:4
	s_waitcnt lgkmcnt(0)
	s_barrier
	buffer_gl0_inv
	global_load_dword v42, v50, s[12:13] offset:24
	ds_read2_b32 v[36:37], v17 offset0:48 offset1:104
	ds_read2_b32 v[40:41], v33 offset0:80 offset1:136
	;; [unrolled: 1-line block ×3, first 2 shown]
	ds_read_b32 v57, v25
	ds_read_b32 v58, v13
	;; [unrolled: 1-line block ×6, first 2 shown]
	v_and_b32_e32 v47, 15, v9
	v_and_or_b32 v48, 0x70, v19, v44
	v_and_b32_e32 v43, 15, v3
	v_and_or_b32 v49, 0xf0, v20, v44
	;; [unrolled: 2-line block ×4, first 2 shown]
	v_and_or_b32 v52, 0x3f0, v23, v44
	v_and_or_b32 v44, 0x2f0, v24, v44
	v_lshlrev_b32_e32 v56, 2, v47
	v_lshl_add_u32 v48, v48, 2, 0
	v_lshlrev_b32_e32 v53, 2, v43
	v_lshl_add_u32 v49, v49, 2, 0
	;; [unrolled: 2-line block ×4, first 2 shown]
	v_lshl_add_u32 v52, v52, 2, 0
	v_lshl_add_u32 v44, v44, 2, 0
	s_waitcnt vmcnt(0) lgkmcnt(0)
	s_barrier
	buffer_gl0_inv
	v_pk_mul_f16 v63, v42, v37 op_sel:[0,1]
	v_pk_mul_f16 v64, v42, v36 op_sel:[0,1]
	;; [unrolled: 1-line block ×6, first 2 shown]
	v_pk_fma_f16 v69, v42, v37, v63 op_sel:[0,0,1] op_sel_hi:[1,1,0]
	v_pk_fma_f16 v37, v42, v37, v63 op_sel:[0,0,1] op_sel_hi:[1,0,0] neg_lo:[1,0,0] neg_hi:[1,0,0]
	v_pk_fma_f16 v63, v42, v36, v64 op_sel:[0,0,1] op_sel_hi:[1,1,0]
	v_pk_fma_f16 v36, v42, v36, v64 op_sel:[0,0,1] op_sel_hi:[1,0,0] neg_lo:[1,0,0] neg_hi:[1,0,0]
	v_pk_fma_f16 v64, v42, v40, v68 op_sel:[0,0,1] op_sel_hi:[1,1,0]
	v_pk_fma_f16 v40, v42, v40, v68 op_sel:[0,0,1] op_sel_hi:[1,0,0] neg_lo:[1,0,0] neg_hi:[1,0,0]
	v_pk_fma_f16 v68, v42, v39, v65 op_sel:[0,0,1] op_sel_hi:[1,1,0]
	v_pk_fma_f16 v39, v42, v39, v65 op_sel:[0,0,1] op_sel_hi:[1,0,0] neg_lo:[1,0,0] neg_hi:[1,0,0]
	v_pk_fma_f16 v65, v42, v41, v67 op_sel:[0,0,1] op_sel_hi:[1,1,0]
	v_pk_fma_f16 v41, v42, v41, v67 op_sel:[0,0,1] op_sel_hi:[1,0,0] neg_lo:[1,0,0] neg_hi:[1,0,0]
	v_pk_fma_f16 v67, v42, v38, v66 op_sel:[0,0,1] op_sel_hi:[1,1,0]
	v_pk_fma_f16 v38, v42, v38, v66 op_sel:[0,0,1] op_sel_hi:[1,0,0] neg_lo:[1,0,0] neg_hi:[1,0,0]
	v_bfi_b32 v40, 0xffff, v64, v40
	v_bfi_b32 v39, 0xffff, v68, v39
	;; [unrolled: 1-line block ×6, first 2 shown]
	v_pk_add_f16 v40, v57, v40 neg_lo:[0,1] neg_hi:[0,1]
	v_pk_add_f16 v41, v58, v41 neg_lo:[0,1] neg_hi:[0,1]
	;; [unrolled: 1-line block ×6, first 2 shown]
	v_pk_fma_f16 v42, v57, 2.0, v40 op_sel_hi:[1,0,1] neg_lo:[0,0,1] neg_hi:[0,0,1]
	v_pk_fma_f16 v57, v58, 2.0, v41 op_sel_hi:[1,0,1] neg_lo:[0,0,1] neg_hi:[0,0,1]
	v_pk_fma_f16 v59, v59, 2.0, v38 op_sel_hi:[1,0,1] neg_lo:[0,0,1] neg_hi:[0,0,1]
	v_pk_fma_f16 v60, v60, 2.0, v39 op_sel_hi:[1,0,1] neg_lo:[0,0,1] neg_hi:[0,0,1]
	v_pk_fma_f16 v61, v61, 2.0, v36 op_sel_hi:[1,0,1] neg_lo:[0,0,1] neg_hi:[0,0,1]
	v_pk_fma_f16 v58, v62, 2.0, v37 op_sel_hi:[1,0,1] neg_lo:[0,0,1] neg_hi:[0,0,1]
	ds_write2_b32 v48, v42, v40 offset1:8
	ds_write2_b32 v49, v57, v41 offset1:8
	;; [unrolled: 1-line block ×6, first 2 shown]
	s_waitcnt lgkmcnt(0)
	s_barrier
	buffer_gl0_inv
	s_clause 0x3
	global_load_dword v36, v56, s[12:13] offset:56
	global_load_dword v37, v53, s[12:13] offset:56
	;; [unrolled: 1-line block ×4, first 2 shown]
	v_and_or_b32 v40, 0x60, v19, v43
	v_and_or_b32 v41, 0xe0, v20, v45
	;; [unrolled: 1-line block ×6, first 2 shown]
	ds_read2_b32 v[19:20], v17 offset0:48 offset1:104
	ds_read2_b32 v[21:22], v33 offset0:192 offset1:248
	;; [unrolled: 1-line block ×3, first 2 shown]
	ds_read_b32 v52, v25
	ds_read_b32 v53, v13
	;; [unrolled: 1-line block ×6, first 2 shown]
	v_and_b32_e32 v48, 31, v7
	v_and_b32_e32 v49, 31, v12
	v_lshl_add_u32 v40, v40, 2, 0
	v_and_b32_e32 v51, 31, v11
	v_lshl_add_u32 v41, v41, 2, 0
	v_lshlrev_b32_e32 v46, 3, v48
	v_and_b32_e32 v50, 31, v3
	v_lshl_add_u32 v42, v42, 2, 0
	v_lshl_add_u32 v44, v44, 2, 0
	v_lshl_add_u32 v43, v43, 2, 0
	v_lshlrev_b32_e32 v47, 3, v49
	v_lshl_add_u32 v45, v45, 2, 0
	s_waitcnt vmcnt(0) lgkmcnt(0)
	s_barrier
	buffer_gl0_inv
	v_pk_mul_f16 v57, v36, v20 op_sel:[0,1]
	v_pk_mul_f16 v62, v37, v23 op_sel:[0,1]
	;; [unrolled: 1-line block ×6, first 2 shown]
	v_pk_fma_f16 v63, v36, v20, v57 op_sel:[0,0,1] op_sel_hi:[1,1,0]
	v_pk_fma_f16 v20, v36, v20, v57 op_sel:[0,0,1] op_sel_hi:[1,0,0] neg_lo:[1,0,0] neg_hi:[1,0,0]
	v_pk_fma_f16 v57, v38, v22, v59 op_sel:[0,0,1] op_sel_hi:[1,1,0]
	v_pk_fma_f16 v22, v38, v22, v59 op_sel:[0,0,1] op_sel_hi:[1,0,0] neg_lo:[1,0,0] neg_hi:[1,0,0]
	;; [unrolled: 2-line block ×6, first 2 shown]
	v_bfi_b32 v23, 0xffff, v59, v23
	v_bfi_b32 v22, 0xffff, v57, v22
	;; [unrolled: 1-line block ×6, first 2 shown]
	v_pk_add_f16 v23, v52, v23 neg_lo:[0,1] neg_hi:[0,1]
	v_pk_add_f16 v24, v53, v24 neg_lo:[0,1] neg_hi:[0,1]
	;; [unrolled: 1-line block ×6, first 2 shown]
	v_pk_fma_f16 v36, v52, 2.0, v23 op_sel_hi:[1,0,1] neg_lo:[0,0,1] neg_hi:[0,0,1]
	v_pk_fma_f16 v37, v53, 2.0, v24 op_sel_hi:[1,0,1] neg_lo:[0,0,1] neg_hi:[0,0,1]
	;; [unrolled: 1-line block ×6, first 2 shown]
	ds_write2_b32 v40, v36, v23 offset1:16
	ds_write2_b32 v41, v37, v24 offset1:16
	;; [unrolled: 1-line block ×6, first 2 shown]
	s_waitcnt lgkmcnt(0)
	s_barrier
	buffer_gl0_inv
	global_load_dwordx2 v[19:20], v46, s[12:13] offset:120
	v_lshlrev_b32_e32 v23, 3, v51
	v_lshlrev_b32_e32 v35, 3, v50
	s_clause 0x2
	global_load_dwordx2 v[21:22], v47, s[12:13] offset:120
	global_load_dwordx2 v[23:24], v23, s[12:13] offset:120
	;; [unrolled: 1-line block ×3, first 2 shown]
	v_lshrrev_b32_e32 v39, 5, v12
	v_lshrrev_b32_e32 v40, 5, v11
	v_add_nc_u32_e32 v41, 0x600, v25
	v_lshrrev_b32_e32 v35, 5, v3
	v_lshrrev_b32_e32 v36, 5, v7
	v_mul_lo_u32 v45, 0x60, v39
	v_mul_lo_u32 v46, 0x60, v40
	ds_read2_b32 v[39:40], v33 offset0:24 offset1:80
	ds_read2_b32 v[41:42], v41 offset0:120 offset1:176
	ds_read_b32 v47, v25
	ds_read2_b32 v[43:44], v33 offset0:136 offset1:192
	ds_read_b32 v16, v16
	ds_read_b32 v14, v14
	;; [unrolled: 1-line block ×4, first 2 shown]
	ds_read_b32 v13, v25 offset:2464
	v_mul_u32_u24_e32 v35, 0x60, v35
	v_mul_lo_u32 v36, 0x60, v36
	s_waitcnt vmcnt(0) lgkmcnt(0)
	s_barrier
	buffer_gl0_inv
	v_or_b32_e32 v35, v35, v50
	v_or_b32_e32 v46, v46, v51
	;; [unrolled: 1-line block ×4, first 2 shown]
	v_lshl_add_u32 v48, v35, 2, 0
	v_lshrrev_b32_e32 v50, 16, v39
	v_lshrrev_b32_e32 v51, 16, v41
	;; [unrolled: 1-line block ×9, first 2 shown]
	v_lshl_add_u32 v49, v36, 2, 0
	v_lshrrev_b32_e32 v36, 16, v15
	v_lshrrev_b32_e32 v59, 16, v47
	;; [unrolled: 1-line block ×3, first 2 shown]
	v_lshl_add_u32 v45, v45, 2, 0
	v_lshl_add_u32 v46, v46, 2, 0
	v_mul_f16_sdwa v61, v19, v39 dst_sel:DWORD dst_unused:UNUSED_PAD src0_sel:WORD_1 src1_sel:DWORD
	v_mul_f16_sdwa v62, v20, v41 dst_sel:DWORD dst_unused:UNUSED_PAD src0_sel:WORD_1 src1_sel:DWORD
	;; [unrolled: 1-line block ×8, first 2 shown]
	v_fma_f16 v50, v19, v50, -v61
	v_mul_f16_sdwa v61, v38, v57 dst_sel:DWORD dst_unused:UNUSED_PAD src0_sel:WORD_1 src1_sel:DWORD
	v_mul_f16_sdwa v66, v54, v22 dst_sel:DWORD dst_unused:UNUSED_PAD src0_sel:DWORD src1_sel:WORD_1
	v_mul_f16_sdwa v67, v21, v40 dst_sel:DWORD dst_unused:UNUSED_PAD src0_sel:WORD_1 src1_sel:DWORD
	v_mul_f16_sdwa v68, v42, v22 dst_sel:DWORD dst_unused:UNUSED_PAD src0_sel:DWORD src1_sel:WORD_1
	v_fma_f16 v51, v20, v51, -v62
	v_mul_f16_sdwa v62, v56, v23 dst_sel:DWORD dst_unused:UNUSED_PAD src0_sel:DWORD src1_sel:WORD_1
	v_fmac_f16_e32 v64, v20, v41
	v_mul_f16_sdwa v20, v58, v24 dst_sel:DWORD dst_unused:UNUSED_PAD src0_sel:DWORD src1_sel:WORD_1
	v_fmac_f16_e32 v63, v19, v39
	v_mul_f16_sdwa v19, v43, v23 dst_sel:DWORD dst_unused:UNUSED_PAD src0_sel:DWORD src1_sel:WORD_1
	v_mul_f16_sdwa v39, v13, v24 dst_sel:DWORD dst_unused:UNUSED_PAD src0_sel:DWORD src1_sel:WORD_1
	v_fmac_f16_e32 v69, v37, v16
	v_fma_f16 v16, v37, v55, -v70
	v_fma_f16 v37, v38, v57, -v71
	v_fmac_f16_e32 v61, v38, v44
	v_fmac_f16_e32 v65, v21, v40
	;; [unrolled: 1-line block ×3, first 2 shown]
	v_fma_f16 v21, v21, v53, -v67
	v_fma_f16 v22, v54, v22, -v68
	v_fmac_f16_e32 v62, v43, v23
	v_fmac_f16_e32 v20, v13, v24
	v_fma_f16 v19, v56, v23, -v19
	v_fma_f16 v13, v58, v24, -v39
	v_add_f16_e32 v38, v69, v61
	v_add_f16_e32 v44, v16, v37
	;; [unrolled: 1-line block ×4, first 2 shown]
	v_sub_f16_e32 v57, v50, v51
	v_add_f16_e32 v50, v50, v51
	v_add_f16_e32 v23, v14, v62
	;; [unrolled: 1-line block ×3, first 2 shown]
	v_sub_f16_e32 v41, v62, v20
	v_add_f16_e32 v53, v52, v63
	v_sub_f16_e32 v56, v63, v64
	v_add_f16_e32 v62, v65, v66
	v_add_f16_e32 v63, v36, v21
	v_sub_f16_e32 v67, v21, v22
	v_add_f16_e32 v21, v21, v22
	v_add_f16_e32 v24, v47, v69
	v_add_f16_e32 v40, v59, v16
	v_sub_f16_e32 v42, v69, v61
	v_sub_f16_e32 v43, v16, v37
	v_add_f16_e32 v69, v19, v13
	v_fmac_f16_e32 v47, -0.5, v38
	v_fmac_f16_e32 v59, -0.5, v44
	;; [unrolled: 1-line block ×4, first 2 shown]
	v_add_f16_e32 v58, v15, v65
	v_sub_f16_e32 v65, v65, v66
	v_add_f16_e32 v68, v35, v19
	v_fmac_f16_e32 v15, -0.5, v62
	v_fmac_f16_e32 v36, -0.5, v21
	v_sub_f16_e32 v19, v19, v13
	v_add_f16_e32 v16, v23, v20
	v_add_f16_e32 v20, v24, v61
	;; [unrolled: 1-line block ×3, first 2 shown]
	v_fmac_f16_e32 v14, -0.5, v39
	v_fmac_f16_e32 v35, -0.5, v69
	v_fmamk_f16 v21, v43, 0xbaee, v47
	v_fmac_f16_e32 v47, 0x3aee, v43
	v_fmamk_f16 v43, v42, 0x3aee, v59
	v_add_f16_e32 v24, v53, v64
	v_add_f16_e32 v44, v55, v51
	v_fmac_f16_e32 v59, 0xbaee, v42
	v_fmamk_f16 v42, v57, 0xbaee, v52
	v_fmamk_f16 v51, v56, 0x3aee, v60
	v_fmac_f16_e32 v52, 0x3aee, v57
	v_fmac_f16_e32 v60, 0xbaee, v56
	v_add_f16_e32 v50, v58, v66
	v_add_f16_e32 v22, v63, v22
	;; [unrolled: 1-line block ×3, first 2 shown]
	v_fmamk_f16 v37, v67, 0xbaee, v15
	v_fmamk_f16 v38, v65, 0x3aee, v36
	v_fmac_f16_e32 v15, 0x3aee, v67
	v_fmac_f16_e32 v36, 0xbaee, v65
	v_fmamk_f16 v13, v19, 0xbaee, v14
	v_fmac_f16_e32 v14, 0x3aee, v19
	v_fmamk_f16 v40, v41, 0x3aee, v35
	v_fmac_f16_e32 v35, 0xbaee, v41
	v_pack_b32_f16 v19, v20, v23
	v_pack_b32_f16 v21, v21, v43
	;; [unrolled: 1-line block ×12, first 2 shown]
	ds_write2_b32 v48, v19, v21 offset1:32
	ds_write_b32 v48, v24 offset:256
	ds_write2_b32 v49, v20, v41 offset1:32
	ds_write_b32 v49, v42 offset:256
	;; [unrolled: 2-line block ×4, first 2 shown]
	s_waitcnt lgkmcnt(0)
	s_barrier
	buffer_gl0_inv
	ds_read2_b32 v[19:20], v25 offset1:96
	ds_read2_b32 v[23:24], v32 offset0:64 offset1:160
	ds_read2_b32 v[21:22], v33 offset0:128 offset1:224
	ds_read_b32 v43, v25 offset:2304
                                        ; implicit-def: $vgpr42
                                        ; implicit-def: $vgpr41
	s_and_saveexec_b32 s1, s0
	s_cbranch_execz .LBB0_15
; %bb.14:
	ds_read_b32 v37, v34
	ds_read2_b32 v[13:14], v33 offset0:88 offset1:184
	ds_read2_b32 v[17:18], v17 offset0:24 offset1:120
	;; [unrolled: 1-line block ×3, first 2 shown]
	ds_read_u16 v39, v25 offset:994
	s_waitcnt lgkmcnt(4)
	v_lshrrev_b32_e32 v38, 16, v37
	s_waitcnt lgkmcnt(3)
	v_lshrrev_b32_e32 v40, 16, v13
	v_lshrrev_b32_e32 v35, 16, v14
	s_waitcnt lgkmcnt(2)
	v_lshrrev_b32_e32 v41, 16, v17
	v_lshrrev_b32_e32 v42, 16, v18
	s_waitcnt lgkmcnt(1)
	v_lshrrev_b32_e32 v36, 16, v15
.LBB0_15:
	s_or_b32 exec_lo, exec_lo, s1
	v_mul_u32_u24_e32 v44, 6, v3
	s_waitcnt lgkmcnt(0)
	v_lshrrev_b32_e32 v50, 16, v43
	v_lshrrev_b32_e32 v51, 16, v22
	;; [unrolled: 1-line block ×4, first 2 shown]
	v_lshlrev_b32_e32 v48, 2, v44
	v_lshrrev_b32_e32 v55, 16, v23
	v_lshrrev_b32_e32 v54, 16, v24
	s_clause 0x1
	global_load_dwordx4 v[44:47], v48, s[12:13] offset:376
	global_load_dwordx2 v[48:49], v48, s[12:13] offset:392
	s_waitcnt vmcnt(0)
	s_barrier
	buffer_gl0_inv
	v_mul_f16_sdwa v56, v44, v53 dst_sel:DWORD dst_unused:UNUSED_PAD src0_sel:WORD_1 src1_sel:DWORD
	v_mul_f16_sdwa v57, v44, v20 dst_sel:DWORD dst_unused:UNUSED_PAD src0_sel:WORD_1 src1_sel:DWORD
	;; [unrolled: 1-line block ×12, first 2 shown]
	v_fmac_f16_e32 v56, v44, v20
	v_fma_f16 v20, v44, v53, -v57
	v_fmac_f16_e32 v58, v45, v23
	v_fma_f16 v23, v45, v55, -v59
	v_fmac_f16_e32 v62, v47, v21
	v_fmac_f16_e32 v66, v49, v43
	v_fma_f16 v21, v49, v50, -v67
	v_fmac_f16_e32 v64, v48, v22
	v_fma_f16 v22, v48, v51, -v65
	;; [unrolled: 2-line block ×3, first 2 shown]
	v_fma_f16 v43, v47, v52, -v63
	v_add_f16_e32 v44, v56, v66
	v_add_f16_e32 v45, v20, v21
	v_sub_f16_e32 v20, v20, v21
	v_add_f16_e32 v21, v58, v64
	v_add_f16_e32 v47, v23, v22
	v_sub_f16_e32 v48, v58, v64
	v_sub_f16_e32 v22, v23, v22
	v_add_f16_e32 v23, v60, v62
	v_add_f16_e32 v49, v24, v43
	v_sub_f16_e32 v50, v62, v60
	;; [unrolled: 4-line block ×3, first 2 shown]
	v_sub_f16_e32 v52, v21, v44
	v_sub_f16_e32 v53, v47, v45
	;; [unrolled: 1-line block ×6, first 2 shown]
	v_add_f16_e32 v54, v50, v48
	v_add_f16_e32 v55, v24, v22
	v_sub_f16_e32 v56, v50, v48
	v_sub_f16_e32 v57, v24, v22
	;; [unrolled: 1-line block ×3, first 2 shown]
	v_add_f16_e32 v23, v23, v43
	v_add_f16_e32 v43, v49, v51
	v_sub_f16_e32 v48, v48, v46
	v_sub_f16_e32 v50, v46, v50
	;; [unrolled: 1-line block ×3, first 2 shown]
	v_add_f16_e32 v46, v54, v46
	v_add_f16_e32 v20, v55, v20
	v_mul_f16_e32 v44, 0x3a52, v44
	v_mul_f16_e32 v45, 0x3a52, v45
	;; [unrolled: 1-line block ×7, first 2 shown]
	v_add_f16_e32 v58, v23, v19
	v_add_f16_sdwa v19, v43, v19 dst_sel:DWORD dst_unused:UNUSED_PAD src0_sel:DWORD src1_sel:WORD_1
	v_mul_f16_e32 v56, 0xbb00, v48
	v_fmamk_f16 v21, v21, 0x2b26, v44
	v_fmamk_f16 v47, v47, 0x2b26, v45
	v_fma_f16 v49, v52, 0x39e0, -v49
	v_fma_f16 v51, v53, 0x39e0, -v51
	v_fma_f16 v44, v52, 0xb9e0, -v44
	v_fma_f16 v45, v53, 0xb9e0, -v45
	v_fmamk_f16 v52, v50, 0xb574, v54
	v_fmamk_f16 v53, v24, 0xb574, v55
	v_fma_f16 v22, v22, 0xbb00, -v55
	v_fma_f16 v24, v24, 0x3574, -v57
	v_fmamk_f16 v23, v23, 0xbcab, v58
	v_fmamk_f16 v43, v43, 0xbcab, v19
	v_fma_f16 v48, v48, 0xbb00, -v54
	v_fma_f16 v50, v50, 0x3574, -v56
	v_fmac_f16_e32 v52, 0xb70e, v46
	v_fmac_f16_e32 v53, 0xb70e, v20
	;; [unrolled: 1-line block ×4, first 2 shown]
	v_add_f16_e32 v20, v21, v23
	v_add_f16_e32 v21, v47, v43
	v_fmac_f16_e32 v48, 0xb70e, v46
	v_fmac_f16_e32 v50, 0xb70e, v46
	v_add_f16_e32 v46, v49, v23
	v_add_f16_e32 v23, v44, v23
	;; [unrolled: 1-line block ×5, first 2 shown]
	v_sub_f16_e32 v47, v21, v52
	v_add_f16_e32 v49, v24, v23
	v_sub_f16_e32 v51, v44, v50
	v_sub_f16_e32 v54, v46, v22
	v_add_f16_e32 v55, v48, v43
	v_add_f16_e32 v22, v22, v46
	v_sub_f16_e32 v43, v43, v48
	v_sub_f16_e32 v23, v23, v24
	v_add_f16_e32 v24, v50, v44
	v_sub_f16_e32 v20, v20, v53
	v_add_f16_e32 v21, v52, v21
	v_pack_b32_f16 v19, v58, v19
	v_pack_b32_f16 v44, v45, v47
	;; [unrolled: 1-line block ×7, first 2 shown]
	ds_write2_b32 v25, v19, v44 offset1:96
	ds_write2_b32 v32, v45, v46 offset0:64 offset1:160
	ds_write2_b32 v33, v22, v23 offset0:128 offset1:224
	ds_write_b32 v25, v20 offset:2304
	s_and_saveexec_b32 s1, s0
	s_cbranch_execz .LBB0_17
; %bb.16:
	v_subrev_nc_u32_e32 v19, 40, v3
	v_mov_b32_e32 v20, 0
	v_add_nc_u32_e32 v32, 0x200, v25
	v_add_nc_u32_e32 v33, 0x600, v25
	v_cndmask_b32_e64 v19, v19, v7, s0
	v_mul_i32_i24_e32 v19, 6, v19
	v_lshlrev_b64 v[19:20], 2, v[19:20]
	v_add_co_u32 v23, s0, s12, v19
	v_add_co_ci_u32_e64 v24, s0, s13, v20, s0
	s_clause 0x1
	global_load_dwordx4 v[19:22], v[23:24], off offset:376
	global_load_dwordx2 v[23:24], v[23:24], off offset:392
	s_waitcnt vmcnt(1)
	v_mul_f16_sdwa v43, v36, v19 dst_sel:DWORD dst_unused:UNUSED_PAD src0_sel:DWORD src1_sel:WORD_1
	s_waitcnt vmcnt(0)
	v_mul_f16_sdwa v44, v42, v24 dst_sel:DWORD dst_unused:UNUSED_PAD src0_sel:DWORD src1_sel:WORD_1
	v_mul_f16_sdwa v45, v35, v22 dst_sel:DWORD dst_unused:UNUSED_PAD src0_sel:DWORD src1_sel:WORD_1
	;; [unrolled: 1-line block ×11, first 2 shown]
	v_fmac_f16_e32 v43, v15, v19
	v_fmac_f16_e32 v44, v18, v24
	;; [unrolled: 1-line block ×6, first 2 shown]
	v_fma_f16 v13, v42, v24, -v49
	v_fma_f16 v14, v36, v19, -v50
	;; [unrolled: 1-line block ×6, first 2 shown]
	v_add_f16_e32 v22, v14, v13
	v_add_f16_e32 v35, v43, v44
	;; [unrolled: 1-line block ×4, first 2 shown]
	v_sub_f16_e32 v19, v43, v44
	v_sub_f16_e32 v20, v45, v46
	;; [unrolled: 1-line block ×3, first 2 shown]
	v_add_f16_e32 v23, v15, v16
	v_add_f16_e32 v36, v46, v45
	v_sub_f16_e32 v13, v14, v13
	v_sub_f16_e32 v14, v16, v15
	;; [unrolled: 1-line block ×3, first 2 shown]
	v_add_f16_e32 v41, v24, v22
	v_add_f16_e32 v44, v39, v35
	v_sub_f16_e32 v16, v19, v20
	v_sub_f16_e32 v17, v20, v21
	v_add_f16_e32 v18, v20, v21
	v_sub_f16_e32 v20, v22, v23
	v_sub_f16_e32 v40, v23, v24
	;; [unrolled: 1-line block ×6, first 2 shown]
	v_add_f16_e32 v14, v14, v15
	v_sub_f16_e32 v21, v21, v19
	v_add_f16_e32 v23, v23, v41
	v_add_f16_e32 v36, v36, v44
	v_sub_f16_e32 v15, v15, v13
	v_sub_f16_e32 v22, v24, v22
	;; [unrolled: 1-line block ×3, first 2 shown]
	v_mul_f16_e32 v17, 0x3846, v17
	v_add_f16_e32 v18, v18, v19
	v_mul_f16_e32 v19, 0x3a52, v20
	v_mul_f16_e32 v20, 0x2b26, v40
	;; [unrolled: 1-line block ×4, first 2 shown]
	v_add_f16_e32 v13, v14, v13
	v_mul_f16_e32 v14, 0xbb00, v21
	v_add_f16_e32 v38, v38, v23
	v_add_f16_e32 v37, v37, v36
	v_mul_f16_e32 v39, 0x2b26, v43
	v_mul_f16_e32 v42, 0xbb00, v15
	v_fmamk_f16 v44, v16, 0xb574, v17
	v_fmamk_f16 v40, v40, 0x2b26, v19
	;; [unrolled: 1-line block ×4, first 2 shown]
	v_fma_f16 v14, v16, 0x3574, -v14
	v_fma_f16 v16, v22, 0xb9e0, -v19
	;; [unrolled: 1-line block ×4, first 2 shown]
	v_fmamk_f16 v22, v23, 0xbcab, v38
	v_fmamk_f16 v23, v36, 0xbcab, v37
	v_fma_f16 v19, v24, 0xb9e0, -v35
	v_fma_f16 v35, v45, 0x3574, -v42
	;; [unrolled: 1-line block ×4, first 2 shown]
	v_fmac_f16_e32 v44, 0xb70e, v18
	v_fmac_f16_e32 v46, 0xb70e, v13
	;; [unrolled: 1-line block ×4, first 2 shown]
	v_add_f16_e32 v18, v40, v22
	v_add_f16_e32 v24, v43, v23
	;; [unrolled: 1-line block ×3, first 2 shown]
	v_fmac_f16_e32 v35, 0xb70e, v13
	v_fmac_f16_e32 v15, 0xb70e, v13
	v_add_f16_e32 v19, v19, v23
	v_add_f16_e32 v20, v20, v22
	;; [unrolled: 1-line block ×5, first 2 shown]
	v_sub_f16_e32 v14, v16, v14
	v_sub_f16_e32 v16, v18, v44
	v_add_f16_e32 v18, v46, v24
	v_pack_b32_f16 v13, v37, v38
	v_sub_f16_e32 v23, v24, v46
	v_sub_f16_e32 v37, v20, v17
	v_add_f16_e32 v17, v17, v20
	v_add_f16_e32 v20, v35, v19
	v_sub_f16_e32 v24, v21, v15
	v_add_f16_e32 v15, v15, v21
	v_sub_f16_e32 v19, v19, v35
	v_pack_b32_f16 v16, v18, v16
	v_pack_b32_f16 v14, v20, v14
	;; [unrolled: 1-line block ×6, first 2 shown]
	ds_write2_b32 v25, v13, v16 offset0:56 offset1:152
	ds_write2_b32 v32, v14, v17 offset0:120 offset1:216
	;; [unrolled: 1-line block ×3, first 2 shown]
	ds_write_b32 v25, v19 offset:2528
.LBB0_17:
	s_or_b32 exec_lo, exec_lo, s1
	s_waitcnt lgkmcnt(0)
	s_barrier
	buffer_gl0_inv
	ds_read_b32 v13, v25
	v_sub_nc_u32_e32 v14, 0, v4
	s_add_u32 s1, s12, 0xa78
	s_addc_u32 s4, s13, 0
	s_mov_b32 s5, exec_lo
                                        ; implicit-def: $vgpr20
                                        ; implicit-def: $vgpr18
                                        ; implicit-def: $vgpr19
	v_cmpx_ne_u32_e32 0, v3
	s_xor_b32 s5, exec_lo, s5
	s_cbranch_execz .LBB0_19
; %bb.18:
	v_mov_b32_e32 v4, 0
	v_lshlrev_b64 v[15:16], 2, v[3:4]
	v_add_co_u32 v15, s0, s1, v15
	v_add_co_ci_u32_e64 v16, s0, s4, v16, s0
	global_load_dword v4, v[15:16], off
	ds_read_b32 v15, v14 offset:2688
	s_waitcnt lgkmcnt(0)
	v_pk_add_f16 v16, v13, v15 neg_lo:[0,1] neg_hi:[0,1]
	v_pk_add_f16 v13, v15, v13
	v_bfi_b32 v15, 0xffff, v16, v13
	v_bfi_b32 v13, 0xffff, v13, v16
	v_pk_mul_f16 v15, v15, 0.5 op_sel_hi:[1,0]
	v_pk_mul_f16 v17, v13, 0.5 op_sel_hi:[1,0]
	s_waitcnt vmcnt(0)
	v_pk_mul_f16 v16, v4, v15 op_sel:[1,0]
	v_pk_mul_f16 v4, v4, v15 op_sel_hi:[0,1]
	v_pk_fma_f16 v13, v13, 0.5, v16 op_sel_hi:[1,0,1]
	v_sub_f16_e32 v15, v17, v16
	v_sub_f16_sdwa v16, v16, v17 dst_sel:DWORD dst_unused:UNUSED_PAD src0_sel:WORD_1 src1_sel:WORD_1
	v_pk_add_f16 v19, v13, v4 op_sel:[0,1] op_sel_hi:[1,0]
	v_pk_add_f16 v13, v13, v4 op_sel:[0,1] op_sel_hi:[1,0] neg_lo:[0,1] neg_hi:[0,1]
	v_sub_f16_sdwa v18, v15, v4 dst_sel:DWORD dst_unused:UNUSED_PAD src0_sel:DWORD src1_sel:WORD_1
	v_bfi_b32 v20, 0xffff, v19, v13
	v_sub_f16_e32 v19, v16, v4
                                        ; implicit-def: $vgpr13
.LBB0_19:
	s_or_saveexec_b32 s0, s5
	v_sub_nc_u32_e32 v17, 0, v8
	v_sub_nc_u32_e32 v16, 0, v29
	;; [unrolled: 1-line block ×4, first 2 shown]
	s_xor_b32 exec_lo, exec_lo, s0
	s_cbranch_execz .LBB0_21
; %bb.20:
	v_mov_b32_e32 v19, 0
	s_waitcnt lgkmcnt(0)
	v_alignbit_b32 v18, s0, v13, 16
	ds_read_u16 v8, v19 offset:1346
	v_pk_add_f16 v20, v18, v13
	v_sub_f16_sdwa v18, v13, v13 dst_sel:DWORD dst_unused:UNUSED_PAD src0_sel:DWORD src1_sel:WORD_1
	v_pack_b32_f16 v20, v20, 0
	s_waitcnt lgkmcnt(0)
	v_xor_b32_e32 v8, 0x8000, v8
	ds_write_b16 v19, v8 offset:1346
.LBB0_21:
	s_or_b32 exec_lo, exec_lo, s0
	v_mov_b32_e32 v8, 0
	v_add_nc_u32_e32 v17, v28, v17
	v_add_nc_u32_e32 v0, v0, v4
	v_lshlrev_b64 v[21:22], 2, v[7:8]
	s_waitcnt lgkmcnt(0)
	v_mov_b32_e32 v13, v8
	v_lshlrev_b64 v[12:13], 2, v[12:13]
	v_add_co_u32 v21, s0, s1, v21
	v_add_co_ci_u32_e64 v22, s0, s4, v22, s0
	v_add_co_u32 v12, s0, s1, v12
	global_load_dword v7, v[21:22], off
	v_add_co_ci_u32_e64 v13, s0, s4, v13, s0
	global_load_dword v13, v[12:13], off
	v_mov_b32_e32 v12, v8
	v_lshlrev_b64 v[11:12], 2, v[11:12]
	v_add_co_u32 v11, s0, s1, v11
	v_add_co_ci_u32_e64 v12, s0, s4, v12, s0
	global_load_dword v12, v[11:12], off
	v_mov_b32_e32 v11, v8
	v_lshlrev_b64 v[10:11], 2, v[10:11]
	v_add_co_u32 v10, s0, s1, v10
	;; [unrolled: 5-line block ×3, first 2 shown]
	v_add_co_ci_u32_e64 v10, s0, s4, v10, s0
	global_load_dword v9, v[9:10], off
	ds_write_b16 v14, v19 offset:2690
	ds_write_b32 v25, v20
	ds_write_b16 v14, v18 offset:2688
	ds_read_b32 v10, v34
	ds_read_b32 v18, v14 offset:2464
	s_waitcnt lgkmcnt(0)
	v_pk_add_f16 v19, v10, v18 neg_lo:[0,1] neg_hi:[0,1]
	v_pk_add_f16 v10, v10, v18
	v_bfi_b32 v18, 0xffff, v19, v10
	v_bfi_b32 v10, 0xffff, v10, v19
	v_pk_mul_f16 v18, v18, 0.5 op_sel_hi:[1,0]
	v_pk_mul_f16 v10, v10, 0.5 op_sel_hi:[1,0]
	s_waitcnt vmcnt(4)
	v_pk_fma_f16 v19, v7, v18, v10 op_sel:[1,0,0]
	v_pk_mul_f16 v20, v7, v18 op_sel_hi:[0,1]
	v_pk_fma_f16 v21, v7, v18, v10 op_sel:[1,0,0] neg_lo:[1,0,0] neg_hi:[1,0,0]
	v_pk_fma_f16 v7, v7, v18, v10 op_sel:[1,0,0] neg_lo:[0,0,1] neg_hi:[0,0,1]
	v_pk_add_f16 v10, v19, v20 op_sel:[0,1] op_sel_hi:[1,0]
	v_pk_add_f16 v18, v19, v20 op_sel:[0,1] op_sel_hi:[1,0] neg_lo:[0,1] neg_hi:[0,1]
	v_pk_add_f16 v19, v21, v20 op_sel:[0,1] op_sel_hi:[1,0] neg_lo:[0,1] neg_hi:[0,1]
	;; [unrolled: 1-line block ×3, first 2 shown]
	v_bfi_b32 v10, 0xffff, v10, v18
	v_bfi_b32 v7, 0xffff, v19, v7
	ds_write_b32 v34, v10
	ds_write_b32 v14, v7 offset:2464
	ds_read_b32 v7, v17
	ds_read_b32 v10, v14 offset:2240
	s_waitcnt lgkmcnt(0)
	v_pk_add_f16 v18, v7, v10 neg_lo:[0,1] neg_hi:[0,1]
	v_pk_add_f16 v7, v7, v10
	v_bfi_b32 v10, 0xffff, v18, v7
	v_bfi_b32 v7, 0xffff, v7, v18
	v_pk_mul_f16 v10, v10, 0.5 op_sel_hi:[1,0]
	v_pk_mul_f16 v7, v7, 0.5 op_sel_hi:[1,0]
	s_waitcnt vmcnt(3)
	v_pk_mul_f16 v19, v13, v10 op_sel_hi:[0,1]
	v_pk_fma_f16 v18, v13, v10, v7 op_sel:[1,0,0]
	v_pk_fma_f16 v20, v13, v10, v7 op_sel:[1,0,0] neg_lo:[1,0,0] neg_hi:[1,0,0]
	v_pk_fma_f16 v7, v13, v10, v7 op_sel:[1,0,0] neg_lo:[0,0,1] neg_hi:[0,0,1]
	v_pk_add_f16 v10, v18, v19 op_sel:[0,1] op_sel_hi:[1,0]
	v_pk_add_f16 v13, v18, v19 op_sel:[0,1] op_sel_hi:[1,0] neg_lo:[0,1] neg_hi:[0,1]
	v_pk_add_f16 v18, v20, v19 op_sel:[0,1] op_sel_hi:[1,0] neg_lo:[0,1] neg_hi:[0,1]
	;; [unrolled: 1-line block ×3, first 2 shown]
	v_bfi_b32 v10, 0xffff, v10, v13
	v_add_nc_u32_e32 v13, v27, v16
	v_bfi_b32 v7, 0xffff, v18, v7
	ds_write_b32 v17, v10
	ds_write_b32 v14, v7 offset:2240
	ds_read_b32 v7, v13
	ds_read_b32 v10, v14 offset:2016
	s_waitcnt lgkmcnt(0)
	v_pk_add_f16 v16, v7, v10 neg_lo:[0,1] neg_hi:[0,1]
	v_pk_add_f16 v7, v7, v10
	v_bfi_b32 v10, 0xffff, v16, v7
	v_bfi_b32 v7, 0xffff, v7, v16
	v_pk_mul_f16 v10, v10, 0.5 op_sel_hi:[1,0]
	v_pk_mul_f16 v7, v7, 0.5 op_sel_hi:[1,0]
	s_waitcnt vmcnt(2)
	v_pk_mul_f16 v17, v12, v10 op_sel_hi:[0,1]
	v_pk_fma_f16 v16, v12, v10, v7 op_sel:[1,0,0]
	v_pk_fma_f16 v18, v12, v10, v7 op_sel:[1,0,0] neg_lo:[1,0,0] neg_hi:[1,0,0]
	v_pk_fma_f16 v7, v12, v10, v7 op_sel:[1,0,0] neg_lo:[0,0,1] neg_hi:[0,0,1]
	v_pk_add_f16 v10, v16, v17 op_sel:[0,1] op_sel_hi:[1,0]
	v_pk_add_f16 v12, v16, v17 op_sel:[0,1] op_sel_hi:[1,0] neg_lo:[0,1] neg_hi:[0,1]
	v_pk_add_f16 v16, v18, v17 op_sel:[0,1] op_sel_hi:[1,0] neg_lo:[0,1] neg_hi:[0,1]
	v_pk_add_f16 v7, v7, v17 op_sel:[0,1] op_sel_hi:[1,0] neg_lo:[0,1] neg_hi:[0,1]
	v_bfi_b32 v10, 0xffff, v10, v12
	v_add_nc_u32_e32 v12, v26, v15
	v_bfi_b32 v7, 0xffff, v16, v7
	ds_write_b32 v13, v10
	ds_write_b32 v14, v7 offset:2016
	ds_read_b32 v7, v12
	ds_read_b32 v10, v14 offset:1792
	s_waitcnt lgkmcnt(0)
	v_pk_add_f16 v13, v7, v10 neg_lo:[0,1] neg_hi:[0,1]
	v_pk_add_f16 v7, v7, v10
	v_bfi_b32 v10, 0xffff, v13, v7
	v_bfi_b32 v7, 0xffff, v7, v13
	v_pk_mul_f16 v10, v10, 0.5 op_sel_hi:[1,0]
	v_pk_mul_f16 v7, v7, 0.5 op_sel_hi:[1,0]
	s_waitcnt vmcnt(1)
	v_pk_mul_f16 v15, v11, v10 op_sel_hi:[0,1]
	v_pk_fma_f16 v13, v11, v10, v7 op_sel:[1,0,0]
	v_pk_fma_f16 v16, v11, v10, v7 op_sel:[1,0,0] neg_lo:[1,0,0] neg_hi:[1,0,0]
	v_pk_fma_f16 v7, v11, v10, v7 op_sel:[1,0,0] neg_lo:[0,0,1] neg_hi:[0,0,1]
	v_pk_add_f16 v10, v13, v15 op_sel:[0,1] op_sel_hi:[1,0]
	v_pk_add_f16 v11, v13, v15 op_sel:[0,1] op_sel_hi:[1,0] neg_lo:[0,1] neg_hi:[0,1]
	v_pk_add_f16 v13, v16, v15 op_sel:[0,1] op_sel_hi:[1,0] neg_lo:[0,1] neg_hi:[0,1]
	;; [unrolled: 1-line block ×3, first 2 shown]
	v_bfi_b32 v10, 0xffff, v10, v11
	v_bfi_b32 v7, 0xffff, v13, v7
	ds_write_b32 v12, v10
	ds_write_b32 v14, v7 offset:1792
	ds_read_b32 v4, v0
	ds_read_b32 v7, v14 offset:1568
	s_waitcnt lgkmcnt(0)
	v_pk_add_f16 v10, v4, v7 neg_lo:[0,1] neg_hi:[0,1]
	v_pk_add_f16 v4, v4, v7
	v_bfi_b32 v7, 0xffff, v10, v4
	v_bfi_b32 v4, 0xffff, v4, v10
	v_pk_mul_f16 v7, v7, 0.5 op_sel_hi:[1,0]
	v_pk_mul_f16 v4, v4, 0.5 op_sel_hi:[1,0]
	s_waitcnt vmcnt(0)
	v_pk_mul_f16 v11, v9, v7 op_sel_hi:[0,1]
	v_pk_fma_f16 v10, v9, v7, v4 op_sel:[1,0,0]
	v_pk_fma_f16 v12, v9, v7, v4 op_sel:[1,0,0] neg_lo:[1,0,0] neg_hi:[1,0,0]
	v_pk_fma_f16 v4, v9, v7, v4 op_sel:[1,0,0] neg_lo:[0,0,1] neg_hi:[0,0,1]
	v_pk_add_f16 v7, v10, v11 op_sel:[0,1] op_sel_hi:[1,0]
	v_pk_add_f16 v9, v10, v11 op_sel:[0,1] op_sel_hi:[1,0] neg_lo:[0,1] neg_hi:[0,1]
	v_pk_add_f16 v10, v12, v11 op_sel:[0,1] op_sel_hi:[1,0] neg_lo:[0,1] neg_hi:[0,1]
	;; [unrolled: 1-line block ×3, first 2 shown]
	v_bfi_b32 v7, 0xffff, v7, v9
	v_bfi_b32 v4, 0xffff, v10, v4
	ds_write_b32 v0, v7
	ds_write_b32 v14, v4 offset:1568
	s_waitcnt lgkmcnt(0)
	s_barrier
	buffer_gl0_inv
	s_and_saveexec_b32 s0, vcc_lo
	s_cbranch_execz .LBB0_24
; %bb.22:
	v_mul_lo_u32 v0, s3, v5
	v_mul_lo_u32 v4, s2, v6
	v_mad_u64_u32 v[5:6], null, s2, v5, 0
	v_lshl_add_u32 v23, v3, 2, 0
	v_add_nc_u32_e32 v7, 56, v3
	ds_read2_b32 v[9:10], v23 offset1:56
	v_add3_u32 v6, v6, v4, v0
	v_mov_b32_e32 v4, v8
	v_lshlrev_b64 v[0:1], 2, v[1:2]
	v_lshlrev_b64 v[13:14], 2, v[7:8]
	v_add_nc_u32_e32 v7, 0x70, v3
	v_lshlrev_b64 v[5:6], 2, v[5:6]
	v_lshlrev_b64 v[11:12], 2, v[3:4]
	ds_read2_b32 v[15:16], v23 offset0:112 offset1:168
	v_add_co_u32 v2, vcc_lo, s10, v5
	v_add_co_ci_u32_e32 v4, vcc_lo, s11, v6, vcc_lo
	v_add_nc_u32_e32 v6, 0x800, v23
	v_add_co_u32 v0, vcc_lo, v2, v0
	v_add_co_ci_u32_e32 v1, vcc_lo, v4, v1, vcc_lo
	v_lshlrev_b64 v[4:5], 2, v[7:8]
	v_add_co_u32 v11, vcc_lo, v0, v11
	v_add_co_ci_u32_e32 v12, vcc_lo, v1, v12, vcc_lo
	v_add_co_u32 v13, vcc_lo, v0, v13
	v_add_nc_u32_e32 v7, 0xa8, v3
	v_add_co_ci_u32_e32 v14, vcc_lo, v1, v14, vcc_lo
	v_add_nc_u32_e32 v2, 0x200, v23
	s_waitcnt lgkmcnt(1)
	global_store_dword v[11:12], v9, off
	global_store_dword v[13:14], v10, off
	v_lshlrev_b64 v[9:10], 2, v[7:8]
	v_add_nc_u32_e32 v7, 0xe0, v3
	ds_read2_b32 v[11:12], v2 offset0:96 offset1:152
	v_add_nc_u32_e32 v2, 0x400, v23
	v_add_co_u32 v4, vcc_lo, v0, v4
	v_lshlrev_b64 v[13:14], 2, v[7:8]
	v_add_nc_u32_e32 v7, 0x118, v3
	v_add_co_ci_u32_e32 v5, vcc_lo, v1, v5, vcc_lo
	v_add_co_u32 v9, vcc_lo, v0, v9
	v_lshlrev_b64 v[17:18], 2, v[7:8]
	v_add_nc_u32_e32 v7, 0x150, v3
	ds_read2_b32 v[19:20], v2 offset0:80 offset1:136
	v_add_co_ci_u32_e32 v10, vcc_lo, v1, v10, vcc_lo
	v_add_co_u32 v13, vcc_lo, v0, v13
	v_add_co_ci_u32_e32 v14, vcc_lo, v1, v14, vcc_lo
	v_lshlrev_b64 v[21:22], 2, v[7:8]
	v_add_nc_u32_e32 v7, 0x188, v3
	v_add_co_u32 v17, vcc_lo, v0, v17
	v_add_co_ci_u32_e32 v18, vcc_lo, v1, v18, vcc_lo
	s_waitcnt lgkmcnt(2)
	global_store_dword v[4:5], v15, off
	global_store_dword v[9:10], v16, off
	s_waitcnt lgkmcnt(1)
	global_store_dword v[13:14], v11, off
	global_store_dword v[17:18], v12, off
	v_lshlrev_b64 v[4:5], 2, v[7:8]
	v_add_nc_u32_e32 v7, 0x1c0, v3
	v_add_co_u32 v9, vcc_lo, v0, v21
	v_add_co_ci_u32_e32 v10, vcc_lo, v1, v22, vcc_lo
	v_lshlrev_b64 v[11:12], 2, v[7:8]
	v_add_nc_u32_e32 v7, 0x1f8, v3
	v_add_co_u32 v4, vcc_lo, v0, v4
	v_add_co_ci_u32_e32 v5, vcc_lo, v1, v5, vcc_lo
	s_waitcnt lgkmcnt(0)
	global_store_dword v[9:10], v19, off
	v_lshlrev_b64 v[9:10], 2, v[7:8]
	v_add_nc_u32_e32 v7, 0x230, v3
	global_store_dword v[4:5], v20, off
	ds_read2_b32 v[4:5], v2 offset0:192 offset1:248
	ds_read2_b32 v[13:14], v6 offset0:48 offset1:104
	v_add_co_u32 v11, vcc_lo, v0, v11
	v_lshlrev_b64 v[15:16], 2, v[7:8]
	v_add_nc_u32_e32 v7, 0x268, v3
	v_add_co_ci_u32_e32 v12, vcc_lo, v1, v12, vcc_lo
	v_add_co_u32 v9, vcc_lo, v0, v9
	v_lshlrev_b64 v[6:7], 2, v[7:8]
	v_add_co_ci_u32_e32 v10, vcc_lo, v1, v10, vcc_lo
	v_add_co_u32 v15, vcc_lo, v0, v15
	v_add_co_ci_u32_e32 v16, vcc_lo, v1, v16, vcc_lo
	v_add_co_u32 v6, vcc_lo, v0, v6
	v_add_co_ci_u32_e32 v7, vcc_lo, v1, v7, vcc_lo
	v_cmp_eq_u32_e32 vcc_lo, 55, v3
	s_waitcnt lgkmcnt(1)
	global_store_dword v[11:12], v4, off
	global_store_dword v[9:10], v5, off
	s_waitcnt lgkmcnt(0)
	global_store_dword v[15:16], v13, off
	global_store_dword v[6:7], v14, off
	s_and_b32 exec_lo, exec_lo, vcc_lo
	s_cbranch_execz .LBB0_24
; %bb.23:
	v_mov_b32_e32 v2, 0
	v_add_co_u32 v0, vcc_lo, 0x800, v0
	v_add_co_ci_u32_e32 v1, vcc_lo, 0, v1, vcc_lo
	ds_read_b32 v2, v2 offset:2688
	s_waitcnt lgkmcnt(0)
	global_store_dword v[0:1], v2, off offset:640
.LBB0_24:
	s_endpgm
	.section	.rodata,"a",@progbits
	.p2align	6, 0x0
	.amdhsa_kernel fft_rtc_back_len672_factors_2_2_2_2_2_3_7_wgs_56_tpt_56_halfLds_half_op_CI_CI_unitstride_sbrr_R2C_dirReg
		.amdhsa_group_segment_fixed_size 0
		.amdhsa_private_segment_fixed_size 0
		.amdhsa_kernarg_size 104
		.amdhsa_user_sgpr_count 6
		.amdhsa_user_sgpr_private_segment_buffer 1
		.amdhsa_user_sgpr_dispatch_ptr 0
		.amdhsa_user_sgpr_queue_ptr 0
		.amdhsa_user_sgpr_kernarg_segment_ptr 1
		.amdhsa_user_sgpr_dispatch_id 0
		.amdhsa_user_sgpr_flat_scratch_init 0
		.amdhsa_user_sgpr_private_segment_size 0
		.amdhsa_wavefront_size32 1
		.amdhsa_uses_dynamic_stack 0
		.amdhsa_system_sgpr_private_segment_wavefront_offset 0
		.amdhsa_system_sgpr_workgroup_id_x 1
		.amdhsa_system_sgpr_workgroup_id_y 0
		.amdhsa_system_sgpr_workgroup_id_z 0
		.amdhsa_system_sgpr_workgroup_info 0
		.amdhsa_system_vgpr_workitem_id 0
		.amdhsa_next_free_vgpr 72
		.amdhsa_next_free_sgpr 27
		.amdhsa_reserve_vcc 1
		.amdhsa_reserve_flat_scratch 0
		.amdhsa_float_round_mode_32 0
		.amdhsa_float_round_mode_16_64 0
		.amdhsa_float_denorm_mode_32 3
		.amdhsa_float_denorm_mode_16_64 3
		.amdhsa_dx10_clamp 1
		.amdhsa_ieee_mode 1
		.amdhsa_fp16_overflow 0
		.amdhsa_workgroup_processor_mode 1
		.amdhsa_memory_ordered 1
		.amdhsa_forward_progress 0
		.amdhsa_shared_vgpr_count 0
		.amdhsa_exception_fp_ieee_invalid_op 0
		.amdhsa_exception_fp_denorm_src 0
		.amdhsa_exception_fp_ieee_div_zero 0
		.amdhsa_exception_fp_ieee_overflow 0
		.amdhsa_exception_fp_ieee_underflow 0
		.amdhsa_exception_fp_ieee_inexact 0
		.amdhsa_exception_int_div_zero 0
	.end_amdhsa_kernel
	.text
.Lfunc_end0:
	.size	fft_rtc_back_len672_factors_2_2_2_2_2_3_7_wgs_56_tpt_56_halfLds_half_op_CI_CI_unitstride_sbrr_R2C_dirReg, .Lfunc_end0-fft_rtc_back_len672_factors_2_2_2_2_2_3_7_wgs_56_tpt_56_halfLds_half_op_CI_CI_unitstride_sbrr_R2C_dirReg
                                        ; -- End function
	.section	.AMDGPU.csdata,"",@progbits
; Kernel info:
; codeLenInByte = 9376
; NumSgprs: 29
; NumVgprs: 72
; ScratchSize: 0
; MemoryBound: 0
; FloatMode: 240
; IeeeMode: 1
; LDSByteSize: 0 bytes/workgroup (compile time only)
; SGPRBlocks: 3
; VGPRBlocks: 8
; NumSGPRsForWavesPerEU: 29
; NumVGPRsForWavesPerEU: 72
; Occupancy: 12
; WaveLimiterHint : 1
; COMPUTE_PGM_RSRC2:SCRATCH_EN: 0
; COMPUTE_PGM_RSRC2:USER_SGPR: 6
; COMPUTE_PGM_RSRC2:TRAP_HANDLER: 0
; COMPUTE_PGM_RSRC2:TGID_X_EN: 1
; COMPUTE_PGM_RSRC2:TGID_Y_EN: 0
; COMPUTE_PGM_RSRC2:TGID_Z_EN: 0
; COMPUTE_PGM_RSRC2:TIDIG_COMP_CNT: 0
	.text
	.p2alignl 6, 3214868480
	.fill 48, 4, 3214868480
	.type	__hip_cuid_33f95d4a33a41db6,@object ; @__hip_cuid_33f95d4a33a41db6
	.section	.bss,"aw",@nobits
	.globl	__hip_cuid_33f95d4a33a41db6
__hip_cuid_33f95d4a33a41db6:
	.byte	0                               ; 0x0
	.size	__hip_cuid_33f95d4a33a41db6, 1

	.ident	"AMD clang version 19.0.0git (https://github.com/RadeonOpenCompute/llvm-project roc-6.4.0 25133 c7fe45cf4b819c5991fe208aaa96edf142730f1d)"
	.section	".note.GNU-stack","",@progbits
	.addrsig
	.addrsig_sym __hip_cuid_33f95d4a33a41db6
	.amdgpu_metadata
---
amdhsa.kernels:
  - .args:
      - .actual_access:  read_only
        .address_space:  global
        .offset:         0
        .size:           8
        .value_kind:     global_buffer
      - .offset:         8
        .size:           8
        .value_kind:     by_value
      - .actual_access:  read_only
        .address_space:  global
        .offset:         16
        .size:           8
        .value_kind:     global_buffer
      - .actual_access:  read_only
        .address_space:  global
        .offset:         24
        .size:           8
        .value_kind:     global_buffer
      - .actual_access:  read_only
        .address_space:  global
        .offset:         32
        .size:           8
        .value_kind:     global_buffer
      - .offset:         40
        .size:           8
        .value_kind:     by_value
      - .actual_access:  read_only
        .address_space:  global
        .offset:         48
        .size:           8
        .value_kind:     global_buffer
      - .actual_access:  read_only
        .address_space:  global
        .offset:         56
        .size:           8
        .value_kind:     global_buffer
      - .offset:         64
        .size:           4
        .value_kind:     by_value
      - .actual_access:  read_only
        .address_space:  global
        .offset:         72
        .size:           8
        .value_kind:     global_buffer
      - .actual_access:  read_only
        .address_space:  global
        .offset:         80
        .size:           8
        .value_kind:     global_buffer
      - .actual_access:  read_only
        .address_space:  global
        .offset:         88
        .size:           8
        .value_kind:     global_buffer
      - .actual_access:  write_only
        .address_space:  global
        .offset:         96
        .size:           8
        .value_kind:     global_buffer
    .group_segment_fixed_size: 0
    .kernarg_segment_align: 8
    .kernarg_segment_size: 104
    .language:       OpenCL C
    .language_version:
      - 2
      - 0
    .max_flat_workgroup_size: 56
    .name:           fft_rtc_back_len672_factors_2_2_2_2_2_3_7_wgs_56_tpt_56_halfLds_half_op_CI_CI_unitstride_sbrr_R2C_dirReg
    .private_segment_fixed_size: 0
    .sgpr_count:     29
    .sgpr_spill_count: 0
    .symbol:         fft_rtc_back_len672_factors_2_2_2_2_2_3_7_wgs_56_tpt_56_halfLds_half_op_CI_CI_unitstride_sbrr_R2C_dirReg.kd
    .uniform_work_group_size: 1
    .uses_dynamic_stack: false
    .vgpr_count:     72
    .vgpr_spill_count: 0
    .wavefront_size: 32
    .workgroup_processor_mode: 1
amdhsa.target:   amdgcn-amd-amdhsa--gfx1030
amdhsa.version:
  - 1
  - 2
...

	.end_amdgpu_metadata
